;; amdgpu-corpus repo=ROCm/rocFFT kind=compiled arch=gfx1030 opt=O3
	.text
	.amdgcn_target "amdgcn-amd-amdhsa--gfx1030"
	.amdhsa_code_object_version 6
	.protected	fft_rtc_fwd_len336_factors_6_7_8_wgs_336_tpt_56_half_ip_CI_sbcc_twdbase6_3step_dirReg ; -- Begin function fft_rtc_fwd_len336_factors_6_7_8_wgs_336_tpt_56_half_ip_CI_sbcc_twdbase6_3step_dirReg
	.globl	fft_rtc_fwd_len336_factors_6_7_8_wgs_336_tpt_56_half_ip_CI_sbcc_twdbase6_3step_dirReg
	.p2align	8
	.type	fft_rtc_fwd_len336_factors_6_7_8_wgs_336_tpt_56_half_ip_CI_sbcc_twdbase6_3step_dirReg,@function
fft_rtc_fwd_len336_factors_6_7_8_wgs_336_tpt_56_half_ip_CI_sbcc_twdbase6_3step_dirReg: ; @fft_rtc_fwd_len336_factors_6_7_8_wgs_336_tpt_56_half_ip_CI_sbcc_twdbase6_3step_dirReg
; %bb.0:
	s_load_dwordx8 s[8:15], s[4:5], 0x8
	s_mov_b32 s0, exec_lo
	v_cmpx_gt_u32_e32 0xc0, v0
	s_cbranch_execz .LBB0_2
; %bb.1:
	v_lshlrev_b32_e32 v1, 2, v0
	s_waitcnt lgkmcnt(0)
	global_load_dword v2, v1, s[8:9]
	v_add_nc_u32_e32 v1, 0, v1
	s_waitcnt vmcnt(0)
	ds_write_b32 v1, v2 offset:8064
.LBB0_2:
	s_or_b32 exec_lo, exec_lo, s0
	s_waitcnt lgkmcnt(0)
	s_load_dwordx2 s[0:1], s[12:13], 0x8
	s_mov_b64 s[22:23], 0
	s_waitcnt lgkmcnt(0)
	s_add_u32 s2, s0, -1
	s_addc_u32 s3, s1, -1
	s_add_u32 s7, 0, 0xaaa80000
	s_addc_u32 s8, 0, 0xaa
	s_mul_hi_u32 s16, s7, -6
	s_add_i32 s8, s8, 0x2aaaaa00
	s_sub_i32 s16, s16, s7
	s_mul_i32 s18, s8, -6
	s_mul_i32 s9, s7, -6
	s_add_i32 s16, s16, s18
	s_mul_hi_u32 s17, s7, s9
	s_mul_i32 s20, s7, s16
	s_mul_hi_u32 s18, s7, s16
	s_mul_hi_u32 s19, s8, s9
	s_mul_i32 s9, s8, s9
	s_add_u32 s17, s17, s20
	s_addc_u32 s18, 0, s18
	s_mul_hi_u32 s21, s8, s16
	s_add_u32 s9, s17, s9
	s_mul_i32 s16, s8, s16
	s_addc_u32 s9, s18, s19
	s_addc_u32 s17, s21, 0
	s_add_u32 s9, s9, s16
	v_add_co_u32 v1, s7, s7, s9
	s_addc_u32 s9, 0, s17
	s_cmp_lg_u32 s7, 0
	s_addc_u32 s7, s8, s9
	v_readfirstlane_b32 s8, v1
	s_mul_i32 s16, s2, s7
	s_mul_hi_u32 s9, s2, s7
	s_mul_hi_u32 s17, s3, s7
	s_mul_i32 s7, s3, s7
	s_mul_hi_u32 s18, s2, s8
	s_mul_hi_u32 s19, s3, s8
	s_mul_i32 s8, s3, s8
	s_add_u32 s16, s18, s16
	s_addc_u32 s9, 0, s9
	s_add_u32 s8, s16, s8
	s_addc_u32 s8, s9, s19
	s_addc_u32 s9, s17, 0
	s_add_u32 s8, s8, s7
	s_addc_u32 s9, 0, s9
	s_mul_i32 s16, s8, 6
	s_add_u32 s7, s8, 1
	v_sub_co_u32 v1, s2, s2, s16
	s_mul_hi_u32 s16, s8, 6
	s_addc_u32 s17, s9, 0
	s_mul_i32 s18, s9, 6
	v_sub_co_u32 v2, s19, v1, 6
	s_add_u32 s20, s8, 2
	s_addc_u32 s21, s9, 0
	s_add_i32 s16, s16, s18
	s_cmp_lg_u32 s2, 0
	v_readfirstlane_b32 s2, v2
	s_subb_u32 s3, s3, s16
	s_cmp_lg_u32 s19, 0
	s_subb_u32 s16, s3, 0
	s_cmp_gt_u32 s2, 5
	s_cselect_b32 s2, -1, 0
	s_cmp_eq_u32 s16, 0
	v_readfirstlane_b32 s16, v1
	s_cselect_b32 s2, s2, -1
	s_cmp_lg_u32 s2, 0
	s_cselect_b32 s2, s20, s7
	s_cselect_b32 s17, s21, s17
	s_cmp_gt_u32 s16, 5
	s_cselect_b32 s7, -1, 0
	s_cmp_eq_u32 s3, 0
	s_cselect_b32 s3, s7, -1
	s_mov_b32 s7, 0
	s_cmp_lg_u32 s3, 0
	s_cselect_b32 s2, s2, s8
	s_cselect_b32 s3, s17, s9
	s_add_u32 s20, s2, 1
	s_addc_u32 s21, s3, 0
	v_cmp_lt_u64_e64 s2, s[6:7], s[20:21]
	s_and_b32 vcc_lo, exec_lo, s2
	s_cbranch_vccnz .LBB0_4
; %bb.3:
	v_cvt_f32_u32_e32 v1, s20
	s_sub_i32 s3, 0, s20
	s_mov_b32 s23, s7
	v_rcp_iflag_f32_e32 v1, v1
	v_mul_f32_e32 v1, 0x4f7ffffe, v1
	v_cvt_u32_f32_e32 v1, v1
	v_readfirstlane_b32 s2, v1
	s_mul_i32 s3, s3, s2
	s_mul_hi_u32 s3, s2, s3
	s_add_i32 s2, s2, s3
	s_mul_hi_u32 s2, s6, s2
	s_mul_i32 s3, s2, s20
	s_add_i32 s8, s2, 1
	s_sub_i32 s3, s6, s3
	s_sub_i32 s9, s3, s20
	s_cmp_ge_u32 s3, s20
	s_cselect_b32 s2, s8, s2
	s_cselect_b32 s3, s9, s3
	s_add_i32 s8, s2, 1
	s_cmp_ge_u32 s3, s20
	s_cselect_b32 s22, s8, s2
.LBB0_4:
	s_load_dwordx4 s[16:19], s[14:15], 0x0
	s_clause 0x1
	s_load_dwordx2 s[2:3], s[4:5], 0x58
	s_load_dwordx2 s[8:9], s[4:5], 0x0
	s_mul_i32 s4, s22, s21
	s_mul_hi_u32 s5, s22, s20
	s_mul_i32 s24, s22, s20
	s_add_i32 s5, s5, s4
	s_sub_u32 s34, s6, s24
	s_subb_u32 s4, 0, s5
	s_mul_hi_u32 s33, s34, 6
	s_mul_i32 s4, s4, 6
	v_cmp_lt_u64_e64 s25, s[10:11], 3
	s_mul_i32 s34, s34, 6
	s_add_i32 s33, s33, s4
	s_and_b32 vcc_lo, exec_lo, s25
	s_waitcnt lgkmcnt(0)
	s_mul_i32 s4, s18, s33
	s_mul_hi_u32 s5, s18, s34
	s_mul_i32 s24, s19, s34
	s_add_i32 s4, s5, s4
	s_mul_i32 s35, s18, s34
	s_add_i32 s36, s4, s24
	s_cbranch_vccnz .LBB0_14
; %bb.5:
	s_add_u32 s4, s14, 16
	s_addc_u32 s5, s15, 0
	s_add_u32 s12, s12, 16
	s_addc_u32 s13, s13, 0
	s_mov_b64 s[24:25], 2
	s_mov_b32 s26, 0
.LBB0_6:                                ; =>This Inner Loop Header: Depth=1
	s_load_dwordx2 s[28:29], s[12:13], 0x0
	s_waitcnt lgkmcnt(0)
	s_or_b64 s[30:31], s[22:23], s[28:29]
	s_mov_b32 s27, s31
                                        ; implicit-def: $sgpr30_sgpr31
	s_cmp_lg_u64 s[26:27], 0
	s_mov_b32 s27, -1
	s_cbranch_scc0 .LBB0_8
; %bb.7:                                ;   in Loop: Header=BB0_6 Depth=1
	v_cvt_f32_u32_e32 v1, s28
	v_cvt_f32_u32_e32 v2, s29
	s_sub_u32 s31, 0, s28
	s_subb_u32 s37, 0, s29
	v_fmac_f32_e32 v1, 0x4f800000, v2
	v_rcp_f32_e32 v1, v1
	v_mul_f32_e32 v1, 0x5f7ffffc, v1
	v_mul_f32_e32 v2, 0x2f800000, v1
	v_trunc_f32_e32 v2, v2
	v_fmac_f32_e32 v1, 0xcf800000, v2
	v_cvt_u32_f32_e32 v2, v2
	v_cvt_u32_f32_e32 v1, v1
	v_readfirstlane_b32 s27, v2
	v_readfirstlane_b32 s30, v1
	s_mul_i32 s38, s31, s27
	s_mul_hi_u32 s40, s31, s30
	s_mul_i32 s39, s37, s30
	s_add_i32 s38, s40, s38
	s_mul_i32 s41, s31, s30
	s_add_i32 s38, s38, s39
	s_mul_hi_u32 s40, s30, s41
	s_mul_hi_u32 s42, s27, s41
	s_mul_i32 s39, s27, s41
	s_mul_hi_u32 s41, s30, s38
	s_mul_i32 s30, s30, s38
	s_mul_hi_u32 s43, s27, s38
	s_add_u32 s30, s40, s30
	s_addc_u32 s40, 0, s41
	s_add_u32 s30, s30, s39
	s_mul_i32 s38, s27, s38
	s_addc_u32 s30, s40, s42
	s_addc_u32 s39, s43, 0
	s_add_u32 s30, s30, s38
	s_addc_u32 s38, 0, s39
	v_add_co_u32 v1, s30, v1, s30
	s_cmp_lg_u32 s30, 0
	s_addc_u32 s27, s27, s38
	v_readfirstlane_b32 s30, v1
	s_mul_i32 s38, s31, s27
	s_mul_hi_u32 s39, s31, s30
	s_mul_i32 s37, s37, s30
	s_add_i32 s38, s39, s38
	s_mul_i32 s31, s31, s30
	s_add_i32 s38, s38, s37
	s_mul_hi_u32 s39, s27, s31
	s_mul_i32 s40, s27, s31
	s_mul_hi_u32 s31, s30, s31
	s_mul_hi_u32 s41, s30, s38
	s_mul_i32 s30, s30, s38
	s_mul_hi_u32 s37, s27, s38
	s_add_u32 s30, s31, s30
	s_addc_u32 s31, 0, s41
	s_add_u32 s30, s30, s40
	s_mul_i32 s38, s27, s38
	s_addc_u32 s30, s31, s39
	s_addc_u32 s31, s37, 0
	s_add_u32 s30, s30, s38
	s_addc_u32 s31, 0, s31
	v_add_co_u32 v1, s30, v1, s30
	s_cmp_lg_u32 s30, 0
	s_addc_u32 s27, s27, s31
	v_readfirstlane_b32 s30, v1
	s_mul_i32 s37, s22, s27
	s_mul_hi_u32 s31, s22, s27
	s_mul_hi_u32 s38, s23, s27
	s_mul_i32 s27, s23, s27
	s_mul_hi_u32 s39, s22, s30
	s_mul_hi_u32 s40, s23, s30
	s_mul_i32 s30, s23, s30
	s_add_u32 s37, s39, s37
	s_addc_u32 s31, 0, s31
	s_add_u32 s30, s37, s30
	s_addc_u32 s30, s31, s40
	s_addc_u32 s31, s38, 0
	s_add_u32 s30, s30, s27
	s_addc_u32 s31, 0, s31
	s_mul_hi_u32 s27, s28, s30
	s_mul_i32 s38, s28, s31
	s_mul_i32 s39, s28, s30
	s_add_i32 s27, s27, s38
	v_sub_co_u32 v1, s38, s22, s39
	s_mul_i32 s37, s29, s30
	s_add_i32 s27, s27, s37
	v_sub_co_u32 v2, s39, v1, s28
	s_sub_i32 s37, s23, s27
	s_cmp_lg_u32 s38, 0
	s_subb_u32 s37, s37, s29
	s_cmp_lg_u32 s39, 0
	v_readfirstlane_b32 s39, v2
	s_subb_u32 s37, s37, 0
	s_cmp_ge_u32 s37, s29
	s_cselect_b32 s40, -1, 0
	s_cmp_ge_u32 s39, s28
	s_cselect_b32 s39, -1, 0
	s_cmp_eq_u32 s37, s29
	s_cselect_b32 s37, s39, s40
	s_add_u32 s39, s30, 1
	s_addc_u32 s40, s31, 0
	s_add_u32 s41, s30, 2
	s_addc_u32 s42, s31, 0
	s_cmp_lg_u32 s37, 0
	s_cselect_b32 s37, s41, s39
	s_cselect_b32 s39, s42, s40
	s_cmp_lg_u32 s38, 0
	v_readfirstlane_b32 s38, v1
	s_subb_u32 s27, s23, s27
	s_cmp_ge_u32 s27, s29
	s_cselect_b32 s40, -1, 0
	s_cmp_ge_u32 s38, s28
	s_cselect_b32 s38, -1, 0
	s_cmp_eq_u32 s27, s29
	s_cselect_b32 s27, s38, s40
	s_cmp_lg_u32 s27, 0
	s_mov_b32 s27, 0
	s_cselect_b32 s31, s39, s31
	s_cselect_b32 s30, s37, s30
.LBB0_8:                                ;   in Loop: Header=BB0_6 Depth=1
	s_andn2_b32 vcc_lo, exec_lo, s27
	s_cbranch_vccnz .LBB0_10
; %bb.9:                                ;   in Loop: Header=BB0_6 Depth=1
	v_cvt_f32_u32_e32 v1, s28
	s_sub_i32 s30, 0, s28
	v_rcp_iflag_f32_e32 v1, v1
	v_mul_f32_e32 v1, 0x4f7ffffe, v1
	v_cvt_u32_f32_e32 v1, v1
	v_readfirstlane_b32 s27, v1
	s_mul_i32 s30, s30, s27
	s_mul_hi_u32 s30, s27, s30
	s_add_i32 s27, s27, s30
	s_mul_hi_u32 s27, s22, s27
	s_mul_i32 s30, s27, s28
	s_add_i32 s31, s27, 1
	s_sub_i32 s30, s22, s30
	s_sub_i32 s37, s30, s28
	s_cmp_ge_u32 s30, s28
	s_cselect_b32 s27, s31, s27
	s_cselect_b32 s30, s37, s30
	s_add_i32 s31, s27, 1
	s_cmp_ge_u32 s30, s28
	s_cselect_b32 s30, s31, s27
	s_mov_b32 s31, s26
.LBB0_10:                               ;   in Loop: Header=BB0_6 Depth=1
	s_load_dwordx2 s[38:39], s[4:5], 0x0
	s_mul_i32 s21, s28, s21
	s_mul_hi_u32 s27, s28, s20
	s_mul_i32 s37, s29, s20
	s_mul_i32 s29, s30, s29
	s_mul_hi_u32 s40, s30, s28
	s_mul_i32 s41, s31, s28
	s_add_i32 s21, s27, s21
	s_add_i32 s27, s40, s29
	s_mul_i32 s42, s30, s28
	s_add_i32 s21, s21, s37
	s_add_i32 s27, s27, s41
	s_sub_u32 s22, s22, s42
	s_subb_u32 s23, s23, s27
	s_mul_i32 s20, s28, s20
	s_waitcnt lgkmcnt(0)
	s_mul_i32 s23, s38, s23
	s_mul_hi_u32 s27, s38, s22
	s_add_i32 s23, s27, s23
	s_mul_i32 s27, s39, s22
	s_mul_i32 s22, s38, s22
	s_add_i32 s23, s23, s27
	s_add_u32 s35, s22, s35
	s_addc_u32 s36, s23, s36
	s_add_u32 s24, s24, 1
	s_addc_u32 s25, s25, 0
	s_add_u32 s4, s4, 8
	v_cmp_ge_u64_e64 s22, s[24:25], s[10:11]
	s_addc_u32 s5, s5, 0
	s_add_u32 s12, s12, 8
	s_addc_u32 s13, s13, 0
	s_and_b32 vcc_lo, exec_lo, s22
	s_cbranch_vccnz .LBB0_12
; %bb.11:                               ;   in Loop: Header=BB0_6 Depth=1
	s_mov_b64 s[22:23], s[30:31]
	s_branch .LBB0_6
.LBB0_12:
	v_cmp_lt_u64_e64 s4, s[6:7], s[20:21]
	s_mov_b64 s[22:23], 0
	s_and_b32 vcc_lo, exec_lo, s4
	s_cbranch_vccnz .LBB0_14
; %bb.13:
	v_cvt_f32_u32_e32 v1, s20
	s_sub_i32 s5, 0, s20
	v_rcp_iflag_f32_e32 v1, v1
	v_mul_f32_e32 v1, 0x4f7ffffe, v1
	v_cvt_u32_f32_e32 v1, v1
	v_readfirstlane_b32 s4, v1
	s_mul_i32 s5, s5, s4
	s_mul_hi_u32 s5, s4, s5
	s_add_i32 s4, s4, s5
	s_mul_hi_u32 s4, s6, s4
	s_mul_i32 s5, s4, s20
	s_sub_i32 s5, s6, s5
	s_add_i32 s6, s4, 1
	s_sub_i32 s7, s5, s20
	s_cmp_ge_u32 s5, s20
	s_cselect_b32 s4, s6, s4
	s_cselect_b32 s5, s7, s5
	s_add_i32 s6, s4, 1
	s_cmp_ge_u32 s5, s20
	s_cselect_b32 s22, s6, s4
.LBB0_14:
	s_lshl_b64 s[4:5], s[10:11], 3
	v_mul_hi_u32 v14, 0x2aaaaaab, v0
	s_add_u32 s4, s14, s4
	s_addc_u32 s5, s15, s5
                                        ; implicit-def: $vgpr2
                                        ; implicit-def: $vgpr6
                                        ; implicit-def: $vgpr7
                                        ; implicit-def: $vgpr8
	s_load_dwordx2 s[4:5], s[4:5], 0x0
	v_mul_u32_u24_e32 v1, 6, v14
	v_add_nc_u32_e32 v13, 0xa8, v14
	v_sub_nc_u32_e32 v15, v0, v1
                                        ; implicit-def: $vgpr1
	v_add_co_u32 v4, s6, s34, v15
	v_add_co_ci_u32_e64 v5, null, s33, 0, s6
	s_waitcnt lgkmcnt(0)
	s_mul_i32 s5, s5, s22
	s_mul_hi_u32 s6, s4, s22
	s_mul_i32 s4, s4, s22
	s_add_i32 s6, s6, s5
	s_add_u32 s4, s4, s35
	s_addc_u32 s5, s6, s36
	s_add_u32 s6, s34, 6
	s_addc_u32 s7, s33, 0
	v_cmp_gt_u64_e32 vcc_lo, s[0:1], v[4:5]
	v_cmp_le_u64_e64 s6, s[6:7], s[0:1]
                                        ; implicit-def: $vgpr5
	s_or_b32 s0, s6, vcc_lo
	s_and_saveexec_b32 s1, s0
	s_cbranch_execz .LBB0_16
; %bb.15:
	v_mad_u64_u32 v[5:6], null, s16, v14, 0
	v_mad_u64_u32 v[1:2], null, s18, v15, 0
	v_add_nc_u32_e32 v12, 56, v14
	v_add_nc_u32_e32 v18, 0x70, v14
	s_lshl_b64 s[10:11], s[4:5], 2
	s_add_u32 s0, s2, s10
	v_mov_b32_e32 v3, v6
	v_mad_u64_u32 v[16:17], null, s16, v18, 0
	s_addc_u32 s7, s3, s11
	v_mad_u64_u32 v[6:7], null, s19, v15, v[2:3]
	v_mad_u64_u32 v[7:8], null, s16, v12, 0
	v_mad_u64_u32 v[9:10], null, s17, v14, v[3:4]
	v_mad_u64_u32 v[10:11], null, s16, v13, 0
	v_mov_b32_e32 v2, v6
	v_mov_b32_e32 v3, v8
	;; [unrolled: 1-line block ×3, first 2 shown]
	v_lshlrev_b64 v[1:2], 2, v[1:2]
	v_mad_u64_u32 v[8:9], null, s17, v12, v[3:4]
	v_mov_b32_e32 v3, v17
	v_add_nc_u32_e32 v9, 0xe0, v14
	v_add_co_u32 v22, s0, s0, v1
	v_add_co_ci_u32_e64 v23, s0, s7, v2, s0
	v_mad_u64_u32 v[1:2], null, s17, v18, v[3:4]
	v_mov_b32_e32 v2, v11
	v_mad_u64_u32 v[18:19], null, s16, v9, 0
	v_add_nc_u32_e32 v12, 0x118, v14
	v_lshlrev_b64 v[5:6], 2, v[5:6]
	v_mad_u64_u32 v[2:3], null, s17, v13, v[2:3]
	v_mov_b32_e32 v17, v1
	v_mad_u64_u32 v[20:21], null, s16, v12, 0
	v_mov_b32_e32 v3, v19
	v_lshlrev_b64 v[7:8], 2, v[7:8]
	v_add_co_u32 v5, s0, v22, v5
	v_mov_b32_e32 v11, v2
	v_mad_u64_u32 v[1:2], null, s17, v9, v[3:4]
	v_mov_b32_e32 v2, v21
	v_lshlrev_b64 v[16:17], 2, v[16:17]
	v_add_co_ci_u32_e64 v6, s0, v23, v6, s0
	v_add_co_u32 v7, s0, v22, v7
	v_mad_u64_u32 v[2:3], null, s17, v12, v[2:3]
	v_mov_b32_e32 v19, v1
	v_add_co_ci_u32_e64 v8, s0, v23, v8, s0
	v_lshlrev_b64 v[9:10], 2, v[10:11]
	v_add_co_u32 v11, s0, v22, v16
	v_mov_b32_e32 v21, v2
	v_add_co_ci_u32_e64 v12, s0, v23, v17, s0
	v_lshlrev_b64 v[16:17], 2, v[18:19]
	v_add_co_u32 v9, s0, v22, v9
	v_lshlrev_b64 v[1:2], 2, v[20:21]
	v_add_co_ci_u32_e64 v10, s0, v23, v10, s0
	v_add_co_u32 v16, s0, v22, v16
	v_add_co_ci_u32_e64 v17, s0, v23, v17, s0
	v_add_co_u32 v18, s0, v22, v1
	v_add_co_ci_u32_e64 v19, s0, v23, v2, s0
	s_clause 0x5
	global_load_dword v2, v[5:6], off
	global_load_dword v7, v[7:8], off
	;; [unrolled: 1-line block ×6, first 2 shown]
.LBB0_16:
	s_or_b32 exec_lo, exec_lo, s1
	s_waitcnt vmcnt(0)
	v_pk_add_f16 v9, v8, v1
	v_pk_add_f16 v11, v7, v8
	v_pk_add_f16 v8, v8, v1 neg_lo:[0,1] neg_hi:[0,1]
	v_pk_add_f16 v10, v2, v6
	v_mov_b32_e32 v12, 0x3800
	v_pk_fma_f16 v7, v9, 0.5, v7 op_sel_hi:[1,0,1] neg_lo:[1,0,0] neg_hi:[1,0,0]
	v_pk_add_f16 v9, v6, v5
	v_pk_add_f16 v6, v6, v5 neg_lo:[0,1] neg_hi:[0,1]
	v_mov_b32_e32 v16, 0xbaee
	v_pk_add_f16 v1, v11, v1
	v_pk_fma_f16 v17, 0x3aee, v8, v7 op_sel:[0,0,1] op_sel_hi:[0,1,0]
	v_pk_fma_f16 v7, 0x3aee, v8, v7 op_sel:[0,0,1] op_sel_hi:[0,1,0] neg_lo:[0,1,0] neg_hi:[0,1,0]
	v_pk_fma_f16 v2, v9, 0.5, v2 op_sel_hi:[1,0,1] neg_lo:[1,0,0] neg_hi:[1,0,0]
	v_pk_mul_f16 v6, 0x3aee, v6 op_sel_hi:[0,1]
	v_pk_add_f16 v8, v10, v5
	v_mul_f16_sdwa v9, v17, v12 dst_sel:DWORD dst_unused:UNUSED_PAD src0_sel:WORD_1 src1_sel:DWORD
	v_bfi_b32 v10, 0xffff, v17, v7
	v_mul_f16_sdwa v12, v17, v16 dst_sel:DWORD dst_unused:UNUSED_PAD src0_sel:WORD_1 src1_sel:DWORD
	v_pk_add_f16 v16, v6, v2 op_sel:[1,0] op_sel_hi:[0,1]
	v_pk_add_f16 v17, v2, v6 op_sel:[0,1] op_sel_hi:[1,0] neg_lo:[0,1] neg_hi:[0,1]
	v_fmac_f16_e32 v9, 0x3aee, v7
	v_pk_mul_f16 v2, v10, 0.5 op_sel_hi:[1,0]
	v_fmac_f16_e32 v12, 0.5, v7
	v_mad_u32_u24 v3, 0x90, v14, 0
	v_bfi_b32 v18, 0xffff, v17, v16
	v_add_f16_e32 v5, v16, v9
	v_pk_fma_f16 v19, 0xbaee3aee, v10, v2 op_sel:[0,0,1] op_sel_hi:[1,1,0] neg_lo:[0,0,1] neg_hi:[0,0,1]
	v_add_f16_sdwa v10, v17, v12 dst_sel:DWORD dst_unused:UNUSED_PAD src0_sel:WORD_1 src1_sel:DWORD
	v_pk_add_f16 v2, v8, v1
	v_pk_add_f16 v8, v8, v1 neg_lo:[0,1] neg_hi:[0,1]
	v_sub_f16_e32 v7, v16, v9
	v_pk_add_f16 v6, v18, v19
	v_sub_f16_sdwa v11, v17, v12 dst_sel:DWORD dst_unused:UNUSED_PAD src0_sel:WORD_1 src1_sel:DWORD
	v_pk_add_f16 v9, v18, v19 neg_lo:[0,1] neg_hi:[0,1]
	v_lshl_add_u32 v20, v15, 2, v3
	v_pack_b32_f16 v21, v5, v10
	v_cmp_gt_u32_e64 s0, 0x120, v0
	v_pack_b32_f16 v16, v7, v11
	v_lshrrev_b32_e32 v12, 16, v6
	v_lshrrev_b32_e32 v17, 16, v8
	;; [unrolled: 1-line block ×3, first 2 shown]
	v_lshlrev_b32_e32 v1, 2, v15
	ds_write2_b32 v20, v2, v21 offset1:6
	ds_write2_b32 v20, v6, v8 offset0:12 offset1:18
	ds_write2_b32 v20, v16, v9 offset0:24 offset1:30
	s_waitcnt lgkmcnt(0)
	s_barrier
	buffer_gl0_inv
                                        ; implicit-def: $vgpr19
                                        ; implicit-def: $vgpr16
	s_and_saveexec_b32 s1, s0
	s_cbranch_execz .LBB0_18
; %bb.17:
	v_mul_i32_i24_e32 v2, 0xffffff88, v14
	v_add3_u32 v2, v3, v2, v1
	ds_read_b32 v5, v2 offset:1152
	ds_read_b32 v6, v2 offset:2304
	;; [unrolled: 1-line block ×6, first 2 shown]
	ds_read_b32 v2, v2
	s_waitcnt lgkmcnt(6)
	v_lshrrev_b32_e32 v10, 16, v5
	s_waitcnt lgkmcnt(5)
	v_lshrrev_b32_e32 v12, 16, v6
	;; [unrolled: 2-line block ×6, first 2 shown]
.LBB0_18:
	s_or_b32 exec_lo, exec_lo, s1
	v_mul_hi_u32 v3, 0x2aaaaaab, v14
	v_mul_u32_u24_e32 v3, 6, v3
	v_sub_nc_u32_e32 v3, v14, v3
	v_mul_u32_u24_e32 v20, 6, v3
	v_lshlrev_b32_e32 v24, 2, v20
	s_clause 0x1
	global_load_dwordx4 v[20:23], v24, s[8:9]
	global_load_dwordx2 v[24:25], v24, s[8:9] offset:16
	s_waitcnt vmcnt(0) lgkmcnt(0)
	s_barrier
	buffer_gl0_inv
	v_mul_f16_sdwa v26, v10, v20 dst_sel:DWORD dst_unused:UNUSED_PAD src0_sel:DWORD src1_sel:WORD_1
	v_mul_f16_sdwa v27, v5, v20 dst_sel:DWORD dst_unused:UNUSED_PAD src0_sel:DWORD src1_sel:WORD_1
	;; [unrolled: 1-line block ×12, first 2 shown]
	v_fma_f16 v5, v5, v20, -v26
	v_fmac_f16_e32 v27, v10, v20
	v_fma_f16 v6, v6, v21, -v28
	v_fmac_f16_e32 v29, v12, v21
	;; [unrolled: 2-line block ×6, first 2 shown]
	v_add_f16_e32 v11, v5, v10
	v_add_f16_e32 v12, v27, v37
	v_add_f16_e32 v16, v6, v9
	v_add_f16_e32 v17, v29, v35
	v_sub_f16_e32 v5, v5, v10
	v_sub_f16_e32 v10, v27, v37
	;; [unrolled: 1-line block ×4, first 2 shown]
	v_add_f16_e32 v18, v8, v7
	v_add_f16_e32 v19, v31, v33
	v_sub_f16_e32 v7, v7, v8
	v_sub_f16_e32 v8, v33, v31
	v_add_f16_e32 v20, v16, v11
	v_add_f16_e32 v21, v17, v12
	v_sub_f16_e32 v22, v16, v11
	v_sub_f16_e32 v23, v17, v12
	;; [unrolled: 1-line block ×6, first 2 shown]
	v_add_f16_e32 v16, v7, v6
	v_add_f16_e32 v25, v8, v9
	v_sub_f16_e32 v26, v7, v6
	v_sub_f16_e32 v27, v8, v9
	;; [unrolled: 1-line block ×4, first 2 shown]
	v_add_f16_e32 v18, v18, v20
	v_add_f16_e32 v19, v19, v21
	v_sub_f16_e32 v7, v5, v7
	v_sub_f16_e32 v8, v10, v8
	v_add_f16_e32 v20, v16, v5
	v_add_f16_e32 v10, v25, v10
	v_mul_f16_e32 v11, 0x3a52, v11
	v_mul_f16_e32 v12, 0x3a52, v12
	;; [unrolled: 1-line block ×8, first 2 shown]
	v_add_f16_e32 v5, v2, v18
	v_add_f16_sdwa v16, v2, v19 dst_sel:DWORD dst_unused:UNUSED_PAD src0_sel:WORD_1 src1_sel:DWORD
	v_fmamk_f16 v2, v24, 0x2b26, v11
	v_fmamk_f16 v17, v17, 0x2b26, v12
	v_fma_f16 v21, v22, 0x39e0, -v21
	v_fma_f16 v24, v23, 0x39e0, -v25
	;; [unrolled: 1-line block ×4, first 2 shown]
	v_fmamk_f16 v22, v7, 0x3574, v26
	v_fmamk_f16 v23, v8, 0x3574, v27
	v_fma_f16 v25, v6, 0x3b00, -v26
	v_fma_f16 v9, v9, 0x3b00, -v27
	;; [unrolled: 1-line block ×4, first 2 shown]
	v_fmamk_f16 v6, v18, 0xbcab, v5
	v_fmamk_f16 v7, v19, 0xbcab, v16
	v_fmac_f16_e32 v22, 0x370e, v20
	v_fmac_f16_e32 v23, 0x370e, v10
	;; [unrolled: 1-line block ×6, first 2 shown]
	v_add_f16_e32 v2, v2, v6
	v_add_f16_e32 v28, v17, v7
	;; [unrolled: 1-line block ×7, first 2 shown]
	v_sub_f16_e32 v17, v28, v22
	v_add_f16_e32 v7, v27, v11
	v_sub_f16_e32 v18, v12, v26
	v_sub_f16_e32 v8, v10, v9
	v_add_f16_e32 v19, v25, v20
	v_add_f16_e32 v9, v9, v10
	v_sub_f16_e32 v20, v20, v25
	v_sub_f16_e32 v10, v11, v27
	v_add_f16_e32 v21, v26, v12
	v_sub_f16_e32 v11, v2, v23
	v_add_f16_e32 v22, v22, v28
	s_and_saveexec_b32 s1, s0
	s_cbranch_execz .LBB0_20
; %bb.19:
	v_mul_lo_u16 v2, v14, 43
	v_mov_b32_e32 v12, 0xffff
	v_perm_b32 v23, v18, v7, 0x5040100
	v_perm_b32 v24, v19, v8, 0x5040100
	;; [unrolled: 1-line block ×4, first 2 shown]
	v_and_b32_sdwa v2, v12, v2 dst_sel:DWORD dst_unused:UNUSED_PAD src0_sel:DWORD src1_sel:BYTE_1
	v_perm_b32 v12, v17, v6, 0x5040100
	v_perm_b32 v27, v22, v11, 0x5040100
	v_mad_u32_u24 v2, v2, 42, v3
	v_perm_b32 v3, v16, v5, 0x5040100
	v_mul_i32_i24_e32 v2, 24, v2
	v_add3_u32 v2, 0, v2, v1
	ds_write2_b32 v2, v3, v12 offset1:36
	ds_write2_b32 v2, v23, v24 offset0:72 offset1:108
	ds_write2_b32 v2, v25, v26 offset0:144 offset1:180
	ds_write_b32 v2, v27 offset:864
.LBB0_20:
	s_or_b32 exec_lo, exec_lo, s1
	v_cmp_gt_u32_e64 s0, 0xfc, v0
	s_waitcnt lgkmcnt(0)
	s_barrier
	buffer_gl0_inv
                                        ; implicit-def: $vgpr23
	s_and_saveexec_b32 s1, s0
	s_cbranch_execz .LBB0_22
; %bb.21:
	v_mul_u32_u24_e32 v0, 24, v14
	v_add3_u32 v0, 0, v0, v1
	v_add_nc_u32_e32 v1, 0x7e0, v0
	v_add_nc_u32_e32 v2, 0xfc0, v0
	ds_read2_b32 v[5:6], v0 offset1:252
	v_add_nc_u32_e32 v0, 0x17a0, v0
	ds_read2_b32 v[7:8], v1 offset1:252
	ds_read2_b32 v[9:10], v2 offset1:252
	;; [unrolled: 1-line block ×3, first 2 shown]
	s_waitcnt lgkmcnt(3)
	v_lshrrev_b32_e32 v16, 16, v5
	v_lshrrev_b32_e32 v17, 16, v6
	s_waitcnt lgkmcnt(2)
	v_lshrrev_b32_e32 v18, 16, v7
	v_lshrrev_b32_e32 v19, 16, v8
	;; [unrolled: 3-line block ×4, first 2 shown]
.LBB0_22:
	s_or_b32 exec_lo, exec_lo, s1
	v_mul_hi_u32 v0, 0x6186187, v14
	v_mul_lo_u32 v32, v4, 42
	s_add_i32 s1, 0, 0x1f80
	v_add_nc_u32_e32 v28, 42, v14
	v_add_nc_u32_e32 v27, 0x54, v14
	;; [unrolled: 1-line block ×3, first 2 shown]
	v_mul_u32_u24_e32 v0, 42, v0
	v_sub_nc_u32_e32 v24, v14, v0
	v_mul_u32_u24_e32 v0, 7, v24
	v_mul_lo_u32 v24, v24, v4
	v_add_nc_u32_e32 v4, 0xfc, v14
	v_lshlrev_b32_e32 v25, 2, v0
	s_clause 0x1
	global_load_dwordx4 v[0:3], v25, s[8:9] offset:144
	global_load_dwordx3 v[29:31], v25, s[8:9] offset:160
	v_add_nc_u32_e32 v36, v24, v32
	v_and_b32_e32 v33, 63, v24
	v_lshrrev_b32_e32 v34, 4, v24
	v_lshrrev_b32_e32 v35, 10, v24
	v_add_nc_u32_e32 v25, 0xd2, v14
	v_and_b32_e32 v37, 63, v36
	v_lshrrev_b32_e32 v38, 4, v36
	v_lshrrev_b32_e32 v39, 10, v36
	v_add_nc_u32_e32 v36, v36, v32
	v_lshl_add_u32 v33, v33, 2, 0
	v_and_b32_e32 v34, 0xfc, v34
	v_and_b32_e32 v35, 0xfc, v35
	;; [unrolled: 1-line block ×3, first 2 shown]
	v_lshrrev_b32_e32 v41, 4, v36
	v_and_b32_e32 v40, 63, v36
	v_lshrrev_b32_e32 v42, 10, v36
	v_add_nc_u32_e32 v36, v36, v32
	ds_read_b32 v33, v33 offset:8064
	v_and_b32_e32 v39, 0xfc, v39
	v_and_b32_e32 v41, 0xfc, v41
	v_add_nc_u32_e32 v34, s1, v34
	v_add_nc_u32_e32 v35, s1, v35
	v_and_b32_e32 v43, 63, v36
	v_lshrrev_b32_e32 v44, 4, v36
	v_lshrrev_b32_e32 v45, 10, v36
	v_add_nc_u32_e32 v36, v36, v32
	v_lshl_add_u32 v37, v37, 2, 0
	v_add_nc_u32_e32 v38, s1, v38
	v_add_nc_u32_e32 v39, s1, v39
	v_lshl_add_u32 v40, v40, 2, 0
	v_add_nc_u32_e32 v41, s1, v41
	ds_read_b32 v34, v34 offset:256
	ds_read_b32 v35, v35 offset:512
	;; [unrolled: 1-line block ×7, first 2 shown]
	v_and_b32_e32 v46, 63, v36
	v_lshrrev_b32_e32 v47, 4, v36
	v_lshrrev_b32_e32 v48, 10, v36
	v_add_nc_u32_e32 v36, v36, v32
	v_and_b32_e32 v42, 0xfc, v42
	v_and_b32_e32 v44, 0xfc, v44
	;; [unrolled: 1-line block ×6, first 2 shown]
	v_add_nc_u32_e32 v42, s1, v42
	v_lshrrev_b32_e32 v50, 4, v36
	v_lshrrev_b32_e32 v51, 10, v36
	v_add_nc_u32_e32 v36, v36, v32
	v_lshl_add_u32 v43, v43, 2, 0
	v_add_nc_u32_e32 v44, s1, v44
	v_add_nc_u32_e32 v45, s1, v45
	v_lshl_add_u32 v46, v46, 2, 0
	s_waitcnt lgkmcnt(7)
	v_lshrrev_b32_e32 v52, 16, v33
	v_add_nc_u32_e32 v47, s1, v47
	v_add_nc_u32_e32 v48, s1, v48
	v_lshl_add_u32 v49, v49, 2, 0
	v_add_nc_u32_e32 v32, v36, v32
	ds_read_b32 v42, v42 offset:512
	ds_read_b32 v43, v43 offset:8064
	;; [unrolled: 1-line block ×8, first 2 shown]
	v_and_b32_e32 v53, 63, v36
	v_lshrrev_b32_e32 v54, 4, v36
	v_lshrrev_b32_e32 v55, 10, v36
	s_waitcnt lgkmcnt(14)
	v_mul_f16_sdwa v36, v52, v34 dst_sel:DWORD dst_unused:UNUSED_PAD src0_sel:DWORD src1_sel:WORD_1
	v_mul_f16_sdwa v56, v33, v34 dst_sel:DWORD dst_unused:UNUSED_PAD src0_sel:DWORD src1_sel:WORD_1
	s_waitcnt lgkmcnt(12)
	v_lshrrev_b32_e32 v57, 16, v37
	v_and_b32_e32 v58, 63, v32
	v_lshrrev_b32_e32 v59, 4, v32
	v_lshrrev_b32_e32 v32, 10, v32
	v_and_b32_e32 v50, 0xfc, v50
	v_and_b32_e32 v51, 0xfc, v51
	;; [unrolled: 1-line block ×3, first 2 shown]
	v_fma_f16 v33, v33, v34, -v36
	v_fmac_f16_e32 v56, v52, v34
	s_waitcnt lgkmcnt(11)
	v_mul_f16_sdwa v34, v57, v38 dst_sel:DWORD dst_unused:UNUSED_PAD src0_sel:DWORD src1_sel:WORD_1
	v_mul_f16_sdwa v36, v37, v38 dst_sel:DWORD dst_unused:UNUSED_PAD src0_sel:DWORD src1_sel:WORD_1
	s_waitcnt lgkmcnt(9)
	v_lshrrev_b32_e32 v52, 16, v40
	v_and_b32_e32 v55, 0xfc, v55
	v_and_b32_e32 v59, 0xfc, v59
	;; [unrolled: 1-line block ×3, first 2 shown]
	v_add_nc_u32_e32 v50, s1, v50
	v_add_nc_u32_e32 v51, s1, v51
	v_lshl_add_u32 v53, v53, 2, 0
	v_add_nc_u32_e32 v54, s1, v54
	v_mul_f16_sdwa v60, v56, v35 dst_sel:DWORD dst_unused:UNUSED_PAD src0_sel:DWORD src1_sel:WORD_1
	v_mul_f16_sdwa v61, v33, v35 dst_sel:DWORD dst_unused:UNUSED_PAD src0_sel:DWORD src1_sel:WORD_1
	v_fma_f16 v34, v37, v38, -v34
	v_fmac_f16_e32 v36, v57, v38
	s_waitcnt lgkmcnt(8)
	v_mul_f16_sdwa v37, v52, v41 dst_sel:DWORD dst_unused:UNUSED_PAD src0_sel:DWORD src1_sel:WORD_1
	v_mul_f16_sdwa v38, v40, v41 dst_sel:DWORD dst_unused:UNUSED_PAD src0_sel:DWORD src1_sel:WORD_1
	s_waitcnt lgkmcnt(6)
	v_lshrrev_b32_e32 v57, 16, v43
	v_add_nc_u32_e32 v55, s1, v55
	v_lshl_add_u32 v58, v58, 2, 0
	v_add_nc_u32_e32 v59, s1, v59
	v_add_nc_u32_e32 v32, s1, v32
	ds_read_b32 v50, v50 offset:256
	ds_read_b32 v51, v51 offset:512
	;; [unrolled: 1-line block ×8, first 2 shown]
	v_fma_f16 v33, v35, v33, -v60
	v_fmac_f16_e32 v61, v35, v56
	v_mul_f16_sdwa v35, v36, v39 dst_sel:DWORD dst_unused:UNUSED_PAD src0_sel:DWORD src1_sel:WORD_1
	v_mul_f16_sdwa v56, v34, v39 dst_sel:DWORD dst_unused:UNUSED_PAD src0_sel:DWORD src1_sel:WORD_1
	v_fma_f16 v37, v40, v41, -v37
	v_fmac_f16_e32 v38, v52, v41
	s_waitcnt lgkmcnt(13)
	v_mul_f16_sdwa v40, v57, v44 dst_sel:DWORD dst_unused:UNUSED_PAD src0_sel:DWORD src1_sel:WORD_1
	v_mul_f16_sdwa v41, v43, v44 dst_sel:DWORD dst_unused:UNUSED_PAD src0_sel:DWORD src1_sel:WORD_1
	s_waitcnt lgkmcnt(11)
	v_lshrrev_b32_e32 v52, 16, v46
	v_fma_f16 v34, v39, v34, -v35
	v_fmac_f16_e32 v56, v39, v36
	v_mul_f16_sdwa v35, v38, v42 dst_sel:DWORD dst_unused:UNUSED_PAD src0_sel:DWORD src1_sel:WORD_1
	v_mul_f16_sdwa v36, v37, v42 dst_sel:DWORD dst_unused:UNUSED_PAD src0_sel:DWORD src1_sel:WORD_1
	v_fma_f16 v39, v43, v44, -v40
	v_fmac_f16_e32 v41, v57, v44
	s_waitcnt lgkmcnt(10)
	v_mul_f16_sdwa v40, v52, v47 dst_sel:DWORD dst_unused:UNUSED_PAD src0_sel:DWORD src1_sel:WORD_1
	v_mul_f16_sdwa v43, v46, v47 dst_sel:DWORD dst_unused:UNUSED_PAD src0_sel:DWORD src1_sel:WORD_1
	s_waitcnt lgkmcnt(8)
	v_lshrrev_b32_e32 v44, 16, v49
	;; [unrolled: 11-line block ×3, first 2 shown]
	v_fma_f16 v37, v45, v39, -v37
	v_fmac_f16_e32 v38, v45, v41
	v_mul_f16_sdwa v39, v43, v48 dst_sel:DWORD dst_unused:UNUSED_PAD src0_sel:DWORD src1_sel:WORD_1
	v_mul_f16_sdwa v41, v40, v48 dst_sel:DWORD dst_unused:UNUSED_PAD src0_sel:DWORD src1_sel:WORD_1
	v_fma_f16 v42, v49, v50, -v42
	s_waitcnt lgkmcnt(2)
	v_lshrrev_b32_e32 v49, 16, v58
	v_fmac_f16_e32 v46, v44, v50
	v_mul_f16_sdwa v44, v47, v54 dst_sel:DWORD dst_unused:UNUSED_PAD src0_sel:DWORD src1_sel:WORD_1
	v_mul_f16_sdwa v45, v53, v54 dst_sel:DWORD dst_unused:UNUSED_PAD src0_sel:DWORD src1_sel:WORD_1
	v_fma_f16 v39, v48, v40, -v39
	v_fmac_f16_e32 v41, v48, v43
	s_waitcnt lgkmcnt(1)
	v_mul_f16_sdwa v43, v58, v59 dst_sel:DWORD dst_unused:UNUSED_PAD src0_sel:DWORD src1_sel:WORD_1
	v_mul_f16_sdwa v48, v49, v59 dst_sel:DWORD dst_unused:UNUSED_PAD src0_sel:DWORD src1_sel:WORD_1
	;; [unrolled: 1-line block ×3, first 2 shown]
	v_fmac_f16_e32 v45, v47, v54
	v_fma_f16 v44, v53, v54, -v44
	v_fmac_f16_e32 v43, v49, v59
	v_fma_f16 v47, v58, v59, -v48
	v_mul_f16_sdwa v50, v42, v51 dst_sel:DWORD dst_unused:UNUSED_PAD src0_sel:DWORD src1_sel:WORD_1
	v_fma_f16 v40, v51, v42, -v40
	v_mul_f16_sdwa v42, v45, v55 dst_sel:DWORD dst_unused:UNUSED_PAD src0_sel:DWORD src1_sel:WORD_1
	v_mul_f16_sdwa v48, v44, v55 dst_sel:DWORD dst_unused:UNUSED_PAD src0_sel:DWORD src1_sel:WORD_1
	s_waitcnt lgkmcnt(0)
	v_mul_f16_sdwa v49, v43, v32 dst_sel:DWORD dst_unused:UNUSED_PAD src0_sel:DWORD src1_sel:WORD_1
	v_mul_f16_sdwa v52, v47, v32 dst_sel:DWORD dst_unused:UNUSED_PAD src0_sel:DWORD src1_sel:WORD_1
	v_fmac_f16_e32 v50, v51, v46
	v_fma_f16 v42, v55, v44, -v42
	v_fmac_f16_e32 v48, v55, v45
	v_fma_f16 v44, v32, v47, -v49
	v_fmac_f16_e32 v52, v32, v43
	v_add_nc_u32_e32 v24, 0x126, v14
	s_and_b32 s1, s0, s6
	s_waitcnt vmcnt(1)
	v_mul_f16_sdwa v32, v17, v0 dst_sel:DWORD dst_unused:UNUSED_PAD src0_sel:DWORD src1_sel:WORD_1
	v_mul_f16_sdwa v43, v6, v0 dst_sel:DWORD dst_unused:UNUSED_PAD src0_sel:DWORD src1_sel:WORD_1
	;; [unrolled: 1-line block ×8, first 2 shown]
	s_waitcnt vmcnt(0)
	v_mul_f16_sdwa v54, v21, v29 dst_sel:DWORD dst_unused:UNUSED_PAD src0_sel:DWORD src1_sel:WORD_1
	v_mul_f16_sdwa v55, v10, v29 dst_sel:DWORD dst_unused:UNUSED_PAD src0_sel:DWORD src1_sel:WORD_1
	;; [unrolled: 1-line block ×6, first 2 shown]
	v_fma_f16 v6, v6, v0, -v32
	v_fmac_f16_e32 v43, v17, v0
	v_fma_f16 v0, v7, v1, -v45
	v_fmac_f16_e32 v46, v18, v1
	v_fma_f16 v1, v8, v2, -v47
	v_fmac_f16_e32 v49, v19, v2
	v_fma_f16 v2, v9, v3, -v51
	v_fmac_f16_e32 v53, v20, v3
	v_fma_f16 v3, v10, v29, -v54
	v_fmac_f16_e32 v55, v21, v29
	v_fma_f16 v7, v11, v30, -v57
	v_fmac_f16_e32 v58, v22, v30
	v_fma_f16 v8, v12, v31, -v59
	v_fmac_f16_e32 v60, v23, v31
	v_sub_f16_e32 v2, v5, v2
	v_sub_f16_e32 v9, v16, v53
	;; [unrolled: 1-line block ×8, first 2 shown]
	v_fma_f16 v5, v5, 2.0, -v2
	v_fma_f16 v16, v16, 2.0, -v9
	;; [unrolled: 1-line block ×8, first 2 shown]
	v_sub_f16_e32 v10, v2, v10
	v_add_f16_e32 v7, v9, v7
	v_sub_f16_e32 v12, v3, v12
	v_add_f16_e32 v8, v11, v8
	v_sub_f16_e32 v0, v5, v0
	v_sub_f16_e32 v17, v16, v17
	v_fma_f16 v2, v2, 2.0, -v10
	v_fma_f16 v9, v9, 2.0, -v7
	v_sub_f16_e32 v1, v6, v1
	v_sub_f16_e32 v19, v18, v19
	v_fma_f16 v3, v3, 2.0, -v12
	v_fma_f16 v11, v11, 2.0, -v8
	v_fmamk_f16 v20, v12, 0x39a8, v10
	v_fmamk_f16 v21, v8, 0x39a8, v7
	v_fma_f16 v5, v5, 2.0, -v0
	v_fma_f16 v16, v16, 2.0, -v17
	;; [unrolled: 1-line block ×4, first 2 shown]
	v_fmamk_f16 v22, v3, 0xb9a8, v2
	v_fmamk_f16 v23, v11, 0xb9a8, v9
	v_sub_f16_e32 v19, v0, v19
	v_add_f16_e32 v1, v17, v1
	v_fmac_f16_e32 v20, 0xb9a8, v8
	v_fmac_f16_e32 v21, 0x39a8, v12
	v_sub_f16_e32 v6, v5, v6
	v_sub_f16_e32 v8, v16, v18
	v_fmac_f16_e32 v22, 0xb9a8, v11
	v_fmac_f16_e32 v23, 0x39a8, v3
	v_fma_f16 v0, v0, 2.0, -v19
	v_fma_f16 v3, v17, 2.0, -v1
	;; [unrolled: 1-line block ×4, first 2 shown]
	v_mul_f16_e32 v11, v1, v48
	v_mul_f16_e32 v12, v19, v48
	;; [unrolled: 1-line block ×4, first 2 shown]
	v_fma_f16 v5, v5, 2.0, -v6
	v_fma_f16 v16, v16, 2.0, -v8
	v_fma_f16 v2, v2, 2.0, -v22
	v_fma_f16 v9, v9, 2.0, -v23
	v_mul_f16_e32 v29, v3, v36
	v_mul_f16_e32 v30, v0, v36
	;; [unrolled: 1-line block ×8, first 2 shown]
	v_fma_f16 v11, v19, v42, -v11
	v_fmac_f16_e32 v12, v1, v42
	v_fma_f16 v1, v20, v44, -v17
	v_fmac_f16_e32 v18, v21, v44
	v_mul_f16_e32 v17, v16, v61
	v_mul_f16_e32 v19, v5, v61
	;; [unrolled: 1-line block ×4, first 2 shown]
	v_fma_f16 v29, v0, v35, -v29
	v_fmac_f16_e32 v30, v3, v35
	v_fma_f16 v3, v10, v37, -v31
	v_fmac_f16_e32 v32, v7, v37
	;; [unrolled: 2-line block ×4, first 2 shown]
	v_perm_b32 v0, v12, v11, 0x5040100
	v_fma_f16 v10, v5, v33, -v17
	v_fmac_f16_e32 v19, v16, v33
	v_fma_f16 v11, v2, v34, -v20
	v_fmac_f16_e32 v21, v9, v34
	v_perm_b32 v6, v30, v29, 0x5040100
	v_perm_b32 v2, v32, v3, 0x5040100
	;; [unrolled: 1-line block ×7, first 2 shown]
	s_and_saveexec_b32 s7, s1
	s_cbranch_execz .LBB0_24
; %bb.23:
	v_mad_u64_u32 v[9:10], null, s18, v15, 0
	v_mad_u64_u32 v[11:12], null, s16, v14, 0
	;; [unrolled: 1-line block ×3, first 2 shown]
	s_lshl_b64 s[8:9], s[4:5], 2
	s_add_u32 s1, s2, s8
	s_addc_u32 s8, s3, s9
	v_mad_u64_u32 v[18:19], null, s19, v15, v[10:11]
	v_mad_u64_u32 v[19:20], null, s16, v27, 0
	v_mov_b32_e32 v10, v17
	v_mad_u64_u32 v[21:22], null, s17, v14, v[12:13]
	v_mad_u64_u32 v[22:23], null, s17, v28, v[10:11]
	v_mov_b32_e32 v10, v18
	v_mov_b32_e32 v17, v20
	;; [unrolled: 1-line block ×3, first 2 shown]
	v_lshlrev_b64 v[9:10], 2, v[9:10]
	v_mad_u64_u32 v[20:21], null, s17, v27, v[17:18]
	v_mov_b32_e32 v17, v22
	v_lshlrev_b64 v[11:12], 2, v[11:12]
	v_mad_u64_u32 v[22:23], null, s16, v4, 0
	v_add_co_u32 v32, s1, s1, v9
	v_add_co_ci_u32_e64 v33, s1, s8, v10, s1
	v_lshlrev_b64 v[9:10], 2, v[16:17]
	v_add_co_u32 v11, s1, v32, v11
	v_add_co_ci_u32_e64 v12, s1, v33, v12, s1
	v_mad_u64_u32 v[16:17], null, s16, v26, 0
	v_add_co_u32 v9, s1, v32, v9
	v_add_co_ci_u32_e64 v10, s1, v33, v10, s1
	global_store_dword v[11:12], v7, off
	global_store_dword v[9:10], v8, off
	v_lshlrev_b64 v[9:10], 2, v[19:20]
	v_mad_u64_u32 v[18:19], null, s16, v13, 0
	v_mov_b32_e32 v11, v17
	v_mad_u64_u32 v[20:21], null, s16, v25, 0
	v_add_co_u32 v9, s1, v32, v9
	v_mad_u64_u32 v[11:12], null, s17, v26, v[11:12]
	v_mov_b32_e32 v12, v19
	v_add_co_ci_u32_e64 v10, s1, v33, v10, s1
	v_mov_b32_e32 v17, v21
	v_mad_u64_u32 v[29:30], null, s17, v13, v[12:13]
	global_store_dword v[9:10], v6, off
	v_mad_u64_u32 v[30:31], null, s17, v25, v[17:18]
	v_mov_b32_e32 v17, v11
	v_mad_u64_u32 v[11:12], null, s16, v24, 0
	v_mov_b32_e32 v9, v23
	v_mov_b32_e32 v19, v29
	v_lshlrev_b64 v[16:17], 2, v[16:17]
	v_mov_b32_e32 v21, v30
	v_mad_u64_u32 v[9:10], null, s17, v4, v[9:10]
	v_mov_b32_e32 v10, v12
	v_lshlrev_b64 v[18:19], 2, v[18:19]
	v_add_co_u32 v16, s1, v32, v16
	v_add_co_ci_u32_e64 v17, s1, v33, v17, s1
	v_mad_u64_u32 v[29:30], null, s17, v24, v[10:11]
	v_mov_b32_e32 v23, v9
	v_lshlrev_b64 v[20:21], 2, v[20:21]
	v_add_co_u32 v9, s1, v32, v18
	v_add_co_ci_u32_e64 v10, s1, v33, v19, s1
	v_mov_b32_e32 v12, v29
	v_lshlrev_b64 v[18:19], 2, v[22:23]
	v_add_co_u32 v20, s1, v32, v20
	v_add_co_ci_u32_e64 v21, s1, v33, v21, s1
	v_lshlrev_b64 v[11:12], 2, v[11:12]
	v_add_co_u32 v18, s1, v32, v18
	v_add_co_ci_u32_e64 v19, s1, v33, v19, s1
	v_add_co_u32 v11, s1, v32, v11
	v_add_co_ci_u32_e64 v12, s1, v33, v12, s1
	global_store_dword v[16:17], v2, off
	global_store_dword v[9:10], v3, off
	;; [unrolled: 1-line block ×5, first 2 shown]
.LBB0_24:
	s_or_b32 exec_lo, exec_lo, s7
	s_xor_b32 s1, s6, -1
	s_and_b32 s0, s0, vcc_lo
	s_and_b32 s0, s1, s0
	s_and_saveexec_b32 s1, s0
	s_cbranch_execz .LBB0_26
; %bb.25:
	v_mad_u64_u32 v[9:10], null, s18, v15, 0
	v_mad_u64_u32 v[11:12], null, s16, v14, 0
	;; [unrolled: 1-line block ×3, first 2 shown]
	s_lshl_b64 s[0:1], s[4:5], 2
	s_add_u32 s0, s2, s0
	s_addc_u32 s1, s3, s1
	v_mad_u64_u32 v[18:19], null, s19, v15, v[10:11]
	v_mov_b32_e32 v10, v17
	v_mad_u64_u32 v[14:15], null, s17, v14, v[12:13]
	v_mad_u64_u32 v[19:20], null, s16, v27, 0
	;; [unrolled: 1-line block ×3, first 2 shown]
	v_mov_b32_e32 v10, v18
	v_mad_u64_u32 v[22:23], null, s16, v24, 0
	v_mov_b32_e32 v12, v14
	v_mov_b32_e32 v15, v20
	v_lshlrev_b64 v[9:10], 2, v[9:10]
	v_mov_b32_e32 v17, v21
	v_lshlrev_b64 v[11:12], 2, v[11:12]
	v_mad_u64_u32 v[14:15], null, s17, v27, v[15:16]
	v_add_co_u32 v27, vcc_lo, s0, v9
	v_add_co_ci_u32_e32 v28, vcc_lo, s1, v10, vcc_lo
	v_lshlrev_b64 v[9:10], 2, v[16:17]
	v_add_co_u32 v11, vcc_lo, v27, v11
	v_add_co_ci_u32_e32 v12, vcc_lo, v28, v12, vcc_lo
	v_mad_u64_u32 v[15:16], null, s16, v26, 0
	v_add_co_u32 v9, vcc_lo, v27, v9
	v_add_co_ci_u32_e32 v10, vcc_lo, v28, v10, vcc_lo
	global_store_dword v[11:12], v7, off
	global_store_dword v[9:10], v8, off
	v_mad_u64_u32 v[10:11], null, s16, v13, 0
	v_mov_b32_e32 v20, v14
	v_mov_b32_e32 v9, v16
	v_mad_u64_u32 v[17:18], null, s16, v25, 0
	v_lshlrev_b64 v[7:8], 2, v[19:20]
	v_mad_u64_u32 v[19:20], null, s17, v26, v[9:10]
	v_mov_b32_e32 v9, v11
	v_mad_u64_u32 v[20:21], null, s16, v4, 0
	v_add_co_u32 v7, vcc_lo, v27, v7
	v_mad_u64_u32 v[12:13], null, s17, v13, v[9:10]
	v_mov_b32_e32 v11, v18
	v_add_co_ci_u32_e32 v8, vcc_lo, v28, v8, vcc_lo
	v_mov_b32_e32 v16, v19
	v_mad_u64_u32 v[13:14], null, s17, v25, v[11:12]
	global_store_dword v[7:8], v6, off
	v_lshlrev_b64 v[7:8], 2, v[15:16]
	v_mov_b32_e32 v6, v21
	v_mov_b32_e32 v11, v12
	;; [unrolled: 1-line block ×3, first 2 shown]
	v_mad_u64_u32 v[12:13], null, s17, v4, v[6:7]
	v_mov_b32_e32 v4, v23
	v_add_co_u32 v6, vcc_lo, v27, v7
	v_add_co_ci_u32_e32 v7, vcc_lo, v28, v8, vcc_lo
	v_lshlrev_b64 v[8:9], 2, v[10:11]
	v_mad_u64_u32 v[10:11], null, s17, v24, v[4:5]
	v_mov_b32_e32 v21, v12
	v_lshlrev_b64 v[13:14], 2, v[17:18]
	v_add_co_u32 v8, vcc_lo, v27, v8
	v_lshlrev_b64 v[11:12], 2, v[20:21]
	v_mov_b32_e32 v23, v10
	v_add_co_ci_u32_e32 v9, vcc_lo, v28, v9, vcc_lo
	v_add_co_u32 v13, vcc_lo, v27, v13
	v_lshlrev_b64 v[15:16], 2, v[22:23]
	v_add_co_ci_u32_e32 v14, vcc_lo, v28, v14, vcc_lo
	v_add_co_u32 v10, vcc_lo, v27, v11
	v_add_co_ci_u32_e32 v11, vcc_lo, v28, v12, vcc_lo
	v_add_co_u32 v15, vcc_lo, v27, v15
	v_add_co_ci_u32_e32 v16, vcc_lo, v28, v16, vcc_lo
	global_store_dword v[6:7], v2, off
	global_store_dword v[8:9], v3, off
	;; [unrolled: 1-line block ×5, first 2 shown]
.LBB0_26:
	s_endpgm
	.section	.rodata,"a",@progbits
	.p2align	6, 0x0
	.amdhsa_kernel fft_rtc_fwd_len336_factors_6_7_8_wgs_336_tpt_56_half_ip_CI_sbcc_twdbase6_3step_dirReg
		.amdhsa_group_segment_fixed_size 0
		.amdhsa_private_segment_fixed_size 0
		.amdhsa_kernarg_size 96
		.amdhsa_user_sgpr_count 6
		.amdhsa_user_sgpr_private_segment_buffer 1
		.amdhsa_user_sgpr_dispatch_ptr 0
		.amdhsa_user_sgpr_queue_ptr 0
		.amdhsa_user_sgpr_kernarg_segment_ptr 1
		.amdhsa_user_sgpr_dispatch_id 0
		.amdhsa_user_sgpr_flat_scratch_init 0
		.amdhsa_user_sgpr_private_segment_size 0
		.amdhsa_wavefront_size32 1
		.amdhsa_uses_dynamic_stack 0
		.amdhsa_system_sgpr_private_segment_wavefront_offset 0
		.amdhsa_system_sgpr_workgroup_id_x 1
		.amdhsa_system_sgpr_workgroup_id_y 0
		.amdhsa_system_sgpr_workgroup_id_z 0
		.amdhsa_system_sgpr_workgroup_info 0
		.amdhsa_system_vgpr_workitem_id 0
		.amdhsa_next_free_vgpr 62
		.amdhsa_next_free_sgpr 44
		.amdhsa_reserve_vcc 1
		.amdhsa_reserve_flat_scratch 0
		.amdhsa_float_round_mode_32 0
		.amdhsa_float_round_mode_16_64 0
		.amdhsa_float_denorm_mode_32 3
		.amdhsa_float_denorm_mode_16_64 3
		.amdhsa_dx10_clamp 1
		.amdhsa_ieee_mode 1
		.amdhsa_fp16_overflow 0
		.amdhsa_workgroup_processor_mode 1
		.amdhsa_memory_ordered 1
		.amdhsa_forward_progress 0
		.amdhsa_shared_vgpr_count 0
		.amdhsa_exception_fp_ieee_invalid_op 0
		.amdhsa_exception_fp_denorm_src 0
		.amdhsa_exception_fp_ieee_div_zero 0
		.amdhsa_exception_fp_ieee_overflow 0
		.amdhsa_exception_fp_ieee_underflow 0
		.amdhsa_exception_fp_ieee_inexact 0
		.amdhsa_exception_int_div_zero 0
	.end_amdhsa_kernel
	.text
.Lfunc_end0:
	.size	fft_rtc_fwd_len336_factors_6_7_8_wgs_336_tpt_56_half_ip_CI_sbcc_twdbase6_3step_dirReg, .Lfunc_end0-fft_rtc_fwd_len336_factors_6_7_8_wgs_336_tpt_56_half_ip_CI_sbcc_twdbase6_3step_dirReg
                                        ; -- End function
	.section	.AMDGPU.csdata,"",@progbits
; Kernel info:
; codeLenInByte = 6640
; NumSgprs: 46
; NumVgprs: 62
; ScratchSize: 0
; MemoryBound: 0
; FloatMode: 240
; IeeeMode: 1
; LDSByteSize: 0 bytes/workgroup (compile time only)
; SGPRBlocks: 5
; VGPRBlocks: 7
; NumSGPRsForWavesPerEU: 46
; NumVGPRsForWavesPerEU: 62
; Occupancy: 14
; WaveLimiterHint : 1
; COMPUTE_PGM_RSRC2:SCRATCH_EN: 0
; COMPUTE_PGM_RSRC2:USER_SGPR: 6
; COMPUTE_PGM_RSRC2:TRAP_HANDLER: 0
; COMPUTE_PGM_RSRC2:TGID_X_EN: 1
; COMPUTE_PGM_RSRC2:TGID_Y_EN: 0
; COMPUTE_PGM_RSRC2:TGID_Z_EN: 0
; COMPUTE_PGM_RSRC2:TIDIG_COMP_CNT: 0
	.text
	.p2alignl 6, 3214868480
	.fill 48, 4, 3214868480
	.type	__hip_cuid_75ed623f318a2542,@object ; @__hip_cuid_75ed623f318a2542
	.section	.bss,"aw",@nobits
	.globl	__hip_cuid_75ed623f318a2542
__hip_cuid_75ed623f318a2542:
	.byte	0                               ; 0x0
	.size	__hip_cuid_75ed623f318a2542, 1

	.ident	"AMD clang version 19.0.0git (https://github.com/RadeonOpenCompute/llvm-project roc-6.4.0 25133 c7fe45cf4b819c5991fe208aaa96edf142730f1d)"
	.section	".note.GNU-stack","",@progbits
	.addrsig
	.addrsig_sym __hip_cuid_75ed623f318a2542
	.amdgpu_metadata
---
amdhsa.kernels:
  - .args:
      - .actual_access:  read_only
        .address_space:  global
        .offset:         0
        .size:           8
        .value_kind:     global_buffer
      - .address_space:  global
        .offset:         8
        .size:           8
        .value_kind:     global_buffer
      - .offset:         16
        .size:           8
        .value_kind:     by_value
      - .actual_access:  read_only
        .address_space:  global
        .offset:         24
        .size:           8
        .value_kind:     global_buffer
      - .actual_access:  read_only
        .address_space:  global
        .offset:         32
        .size:           8
        .value_kind:     global_buffer
      - .offset:         40
        .size:           8
        .value_kind:     by_value
      - .actual_access:  read_only
        .address_space:  global
        .offset:         48
        .size:           8
        .value_kind:     global_buffer
      - .actual_access:  read_only
        .address_space:  global
        .offset:         56
        .size:           8
        .value_kind:     global_buffer
      - .offset:         64
        .size:           4
        .value_kind:     by_value
      - .actual_access:  read_only
        .address_space:  global
        .offset:         72
        .size:           8
        .value_kind:     global_buffer
      - .actual_access:  read_only
        .address_space:  global
        .offset:         80
        .size:           8
        .value_kind:     global_buffer
      - .address_space:  global
        .offset:         88
        .size:           8
        .value_kind:     global_buffer
    .group_segment_fixed_size: 0
    .kernarg_segment_align: 8
    .kernarg_segment_size: 96
    .language:       OpenCL C
    .language_version:
      - 2
      - 0
    .max_flat_workgroup_size: 336
    .name:           fft_rtc_fwd_len336_factors_6_7_8_wgs_336_tpt_56_half_ip_CI_sbcc_twdbase6_3step_dirReg
    .private_segment_fixed_size: 0
    .sgpr_count:     46
    .sgpr_spill_count: 0
    .symbol:         fft_rtc_fwd_len336_factors_6_7_8_wgs_336_tpt_56_half_ip_CI_sbcc_twdbase6_3step_dirReg.kd
    .uniform_work_group_size: 1
    .uses_dynamic_stack: false
    .vgpr_count:     62
    .vgpr_spill_count: 0
    .wavefront_size: 32
    .workgroup_processor_mode: 1
amdhsa.target:   amdgcn-amd-amdhsa--gfx1030
amdhsa.version:
  - 1
  - 2
...

	.end_amdgpu_metadata
